;; amdgpu-corpus repo=ROCm/rocFFT kind=compiled arch=gfx906 opt=O3
	.text
	.amdgcn_target "amdgcn-amd-amdhsa--gfx906"
	.amdhsa_code_object_version 6
	.protected	fft_rtc_back_len540_factors_3_10_6_3_wgs_216_tpt_54_halfLds_dp_op_CI_CI_unitstride_sbrr_R2C_dirReg ; -- Begin function fft_rtc_back_len540_factors_3_10_6_3_wgs_216_tpt_54_halfLds_dp_op_CI_CI_unitstride_sbrr_R2C_dirReg
	.globl	fft_rtc_back_len540_factors_3_10_6_3_wgs_216_tpt_54_halfLds_dp_op_CI_CI_unitstride_sbrr_R2C_dirReg
	.p2align	8
	.type	fft_rtc_back_len540_factors_3_10_6_3_wgs_216_tpt_54_halfLds_dp_op_CI_CI_unitstride_sbrr_R2C_dirReg,@function
fft_rtc_back_len540_factors_3_10_6_3_wgs_216_tpt_54_halfLds_dp_op_CI_CI_unitstride_sbrr_R2C_dirReg: ; @fft_rtc_back_len540_factors_3_10_6_3_wgs_216_tpt_54_halfLds_dp_op_CI_CI_unitstride_sbrr_R2C_dirReg
; %bb.0:
	s_load_dwordx4 s[8:11], s[4:5], 0x58
	s_load_dwordx4 s[12:15], s[4:5], 0x0
	;; [unrolled: 1-line block ×3, first 2 shown]
	v_mul_u32_u24_e32 v1, 0x4be, v0
	v_lshrrev_b32_e32 v7, 16, v1
	v_mov_b32_e32 v3, 0
	s_waitcnt lgkmcnt(0)
	v_cmp_lt_u64_e64 s[0:1], s[14:15], 2
	v_mov_b32_e32 v1, 0
	v_lshl_add_u32 v5, s6, 2, v7
	v_mov_b32_e32 v6, v3
	s_and_b64 vcc, exec, s[0:1]
	v_mov_b32_e32 v2, 0
	s_cbranch_vccnz .LBB0_8
; %bb.1:
	s_load_dwordx2 s[0:1], s[4:5], 0x10
	s_add_u32 s2, s18, 8
	s_addc_u32 s3, s19, 0
	s_add_u32 s6, s16, 8
	v_mov_b32_e32 v1, 0
	s_addc_u32 s7, s17, 0
	v_mov_b32_e32 v2, 0
	s_waitcnt lgkmcnt(0)
	s_add_u32 s20, s0, 8
	v_mov_b32_e32 v49, v2
	s_addc_u32 s21, s1, 0
	s_mov_b64 s[22:23], 1
	v_mov_b32_e32 v48, v1
.LBB0_2:                                ; =>This Inner Loop Header: Depth=1
	s_load_dwordx2 s[24:25], s[20:21], 0x0
                                        ; implicit-def: $vgpr50_vgpr51
	s_waitcnt lgkmcnt(0)
	v_or_b32_e32 v4, s25, v6
	v_cmp_ne_u64_e32 vcc, 0, v[3:4]
	s_and_saveexec_b64 s[0:1], vcc
	s_xor_b64 s[26:27], exec, s[0:1]
	s_cbranch_execz .LBB0_4
; %bb.3:                                ;   in Loop: Header=BB0_2 Depth=1
	v_cvt_f32_u32_e32 v4, s24
	v_cvt_f32_u32_e32 v8, s25
	s_sub_u32 s0, 0, s24
	s_subb_u32 s1, 0, s25
	v_mac_f32_e32 v4, 0x4f800000, v8
	v_rcp_f32_e32 v4, v4
	v_mul_f32_e32 v4, 0x5f7ffffc, v4
	v_mul_f32_e32 v8, 0x2f800000, v4
	v_trunc_f32_e32 v8, v8
	v_mac_f32_e32 v4, 0xcf800000, v8
	v_cvt_u32_f32_e32 v8, v8
	v_cvt_u32_f32_e32 v4, v4
	v_mul_lo_u32 v9, s0, v8
	v_mul_hi_u32 v10, s0, v4
	v_mul_lo_u32 v12, s1, v4
	v_mul_lo_u32 v11, s0, v4
	v_add_u32_e32 v9, v10, v9
	v_add_u32_e32 v9, v9, v12
	v_mul_hi_u32 v10, v4, v11
	v_mul_lo_u32 v12, v4, v9
	v_mul_hi_u32 v14, v4, v9
	v_mul_hi_u32 v13, v8, v11
	v_mul_lo_u32 v11, v8, v11
	v_mul_hi_u32 v15, v8, v9
	v_add_co_u32_e32 v10, vcc, v10, v12
	v_addc_co_u32_e32 v12, vcc, 0, v14, vcc
	v_mul_lo_u32 v9, v8, v9
	v_add_co_u32_e32 v10, vcc, v10, v11
	v_addc_co_u32_e32 v10, vcc, v12, v13, vcc
	v_addc_co_u32_e32 v11, vcc, 0, v15, vcc
	v_add_co_u32_e32 v9, vcc, v10, v9
	v_addc_co_u32_e32 v10, vcc, 0, v11, vcc
	v_add_co_u32_e32 v4, vcc, v4, v9
	v_addc_co_u32_e32 v8, vcc, v8, v10, vcc
	v_mul_lo_u32 v9, s0, v8
	v_mul_hi_u32 v10, s0, v4
	v_mul_lo_u32 v11, s1, v4
	v_mul_lo_u32 v12, s0, v4
	v_add_u32_e32 v9, v10, v9
	v_add_u32_e32 v9, v9, v11
	v_mul_lo_u32 v13, v4, v9
	v_mul_hi_u32 v14, v4, v12
	v_mul_hi_u32 v15, v4, v9
	;; [unrolled: 1-line block ×3, first 2 shown]
	v_mul_lo_u32 v12, v8, v12
	v_mul_hi_u32 v10, v8, v9
	v_add_co_u32_e32 v13, vcc, v14, v13
	v_addc_co_u32_e32 v14, vcc, 0, v15, vcc
	v_mul_lo_u32 v9, v8, v9
	v_add_co_u32_e32 v12, vcc, v13, v12
	v_addc_co_u32_e32 v11, vcc, v14, v11, vcc
	v_addc_co_u32_e32 v10, vcc, 0, v10, vcc
	v_add_co_u32_e32 v9, vcc, v11, v9
	v_addc_co_u32_e32 v10, vcc, 0, v10, vcc
	v_add_co_u32_e32 v4, vcc, v4, v9
	v_addc_co_u32_e32 v10, vcc, v8, v10, vcc
	v_mad_u64_u32 v[8:9], s[0:1], v5, v10, 0
	v_mul_hi_u32 v11, v5, v4
	v_add_co_u32_e32 v12, vcc, v11, v8
	v_addc_co_u32_e32 v13, vcc, 0, v9, vcc
	v_mad_u64_u32 v[8:9], s[0:1], v6, v4, 0
	v_mad_u64_u32 v[10:11], s[0:1], v6, v10, 0
	v_add_co_u32_e32 v4, vcc, v12, v8
	v_addc_co_u32_e32 v4, vcc, v13, v9, vcc
	v_addc_co_u32_e32 v8, vcc, 0, v11, vcc
	v_add_co_u32_e32 v4, vcc, v4, v10
	v_addc_co_u32_e32 v10, vcc, 0, v8, vcc
	v_mul_lo_u32 v11, s25, v4
	v_mul_lo_u32 v12, s24, v10
	v_mad_u64_u32 v[8:9], s[0:1], s24, v4, 0
	v_add3_u32 v9, v9, v12, v11
	v_sub_u32_e32 v11, v6, v9
	v_mov_b32_e32 v12, s25
	v_sub_co_u32_e32 v8, vcc, v5, v8
	v_subb_co_u32_e64 v11, s[0:1], v11, v12, vcc
	v_subrev_co_u32_e64 v12, s[0:1], s24, v8
	v_subbrev_co_u32_e64 v11, s[0:1], 0, v11, s[0:1]
	v_cmp_le_u32_e64 s[0:1], s25, v11
	v_cndmask_b32_e64 v13, 0, -1, s[0:1]
	v_cmp_le_u32_e64 s[0:1], s24, v12
	v_cndmask_b32_e64 v12, 0, -1, s[0:1]
	v_cmp_eq_u32_e64 s[0:1], s25, v11
	v_cndmask_b32_e64 v11, v13, v12, s[0:1]
	v_add_co_u32_e64 v12, s[0:1], 2, v4
	v_addc_co_u32_e64 v13, s[0:1], 0, v10, s[0:1]
	v_add_co_u32_e64 v14, s[0:1], 1, v4
	v_addc_co_u32_e64 v15, s[0:1], 0, v10, s[0:1]
	v_subb_co_u32_e32 v9, vcc, v6, v9, vcc
	v_cmp_ne_u32_e64 s[0:1], 0, v11
	v_cmp_le_u32_e32 vcc, s25, v9
	v_cndmask_b32_e64 v11, v15, v13, s[0:1]
	v_cndmask_b32_e64 v13, 0, -1, vcc
	v_cmp_le_u32_e32 vcc, s24, v8
	v_cndmask_b32_e64 v8, 0, -1, vcc
	v_cmp_eq_u32_e32 vcc, s25, v9
	v_cndmask_b32_e32 v8, v13, v8, vcc
	v_cmp_ne_u32_e32 vcc, 0, v8
	v_cndmask_b32_e64 v8, v14, v12, s[0:1]
	v_cndmask_b32_e32 v51, v10, v11, vcc
	v_cndmask_b32_e32 v50, v4, v8, vcc
.LBB0_4:                                ;   in Loop: Header=BB0_2 Depth=1
	s_andn2_saveexec_b64 s[0:1], s[26:27]
	s_cbranch_execz .LBB0_6
; %bb.5:                                ;   in Loop: Header=BB0_2 Depth=1
	v_cvt_f32_u32_e32 v4, s24
	s_sub_i32 s26, 0, s24
	v_mov_b32_e32 v51, v3
	v_rcp_iflag_f32_e32 v4, v4
	v_mul_f32_e32 v4, 0x4f7ffffe, v4
	v_cvt_u32_f32_e32 v4, v4
	v_mul_lo_u32 v8, s26, v4
	v_mul_hi_u32 v8, v4, v8
	v_add_u32_e32 v4, v4, v8
	v_mul_hi_u32 v4, v5, v4
	v_mul_lo_u32 v8, v4, s24
	v_add_u32_e32 v9, 1, v4
	v_sub_u32_e32 v8, v5, v8
	v_subrev_u32_e32 v10, s24, v8
	v_cmp_le_u32_e32 vcc, s24, v8
	v_cndmask_b32_e32 v8, v8, v10, vcc
	v_cndmask_b32_e32 v4, v4, v9, vcc
	v_add_u32_e32 v9, 1, v4
	v_cmp_le_u32_e32 vcc, s24, v8
	v_cndmask_b32_e32 v50, v4, v9, vcc
.LBB0_6:                                ;   in Loop: Header=BB0_2 Depth=1
	s_or_b64 exec, exec, s[0:1]
	v_mul_lo_u32 v4, v51, s24
	v_mul_lo_u32 v10, v50, s25
	v_mad_u64_u32 v[8:9], s[0:1], v50, s24, 0
	s_load_dwordx2 s[0:1], s[6:7], 0x0
	s_load_dwordx2 s[24:25], s[2:3], 0x0
	v_add3_u32 v4, v9, v10, v4
	v_sub_co_u32_e32 v5, vcc, v5, v8
	v_subb_co_u32_e32 v4, vcc, v6, v4, vcc
	s_waitcnt lgkmcnt(0)
	v_mul_lo_u32 v6, s0, v4
	v_mul_lo_u32 v8, s1, v5
	v_mad_u64_u32 v[1:2], s[0:1], s0, v5, v[1:2]
	v_mul_lo_u32 v4, s24, v4
	v_mul_lo_u32 v9, s25, v5
	v_mad_u64_u32 v[48:49], s[0:1], s24, v5, v[48:49]
	s_add_u32 s22, s22, 1
	s_addc_u32 s23, s23, 0
	s_add_u32 s2, s2, 8
	v_add3_u32 v49, v9, v49, v4
	s_addc_u32 s3, s3, 0
	v_mov_b32_e32 v4, s14
	s_add_u32 s6, s6, 8
	v_mov_b32_e32 v5, s15
	s_addc_u32 s7, s7, 0
	v_cmp_ge_u64_e32 vcc, s[22:23], v[4:5]
	s_add_u32 s20, s20, 8
	v_add3_u32 v2, v8, v2, v6
	s_addc_u32 s21, s21, 0
	s_cbranch_vccnz .LBB0_9
; %bb.7:                                ;   in Loop: Header=BB0_2 Depth=1
	v_mov_b32_e32 v5, v50
	v_mov_b32_e32 v6, v51
	s_branch .LBB0_2
.LBB0_8:
	v_mov_b32_e32 v49, v2
	v_mov_b32_e32 v51, v6
	;; [unrolled: 1-line block ×4, first 2 shown]
.LBB0_9:
	s_load_dwordx2 s[4:5], s[4:5], 0x28
	s_lshl_b64 s[6:7], s[14:15], 3
	s_add_u32 s2, s18, s6
	s_addc_u32 s3, s19, s7
	v_and_b32_e32 v3, 3, v7
	s_waitcnt lgkmcnt(0)
	v_cmp_gt_u64_e64 s[0:1], s[4:5], v[50:51]
	v_cmp_le_u64_e32 vcc, s[4:5], v[50:51]
                                        ; implicit-def: $vgpr52
                                        ; implicit-def: $vgpr54
                                        ; implicit-def: $vgpr58
                                        ; implicit-def: $vgpr56
	s_and_saveexec_b64 s[4:5], vcc
	s_xor_b64 s[4:5], exec, s[4:5]
; %bb.10:
	s_mov_b32 s14, 0x4bda130
	v_mul_hi_u32 v1, v0, s14
	v_mul_u32_u24_e32 v1, 54, v1
	v_sub_u32_e32 v52, v0, v1
	v_add_u32_e32 v54, 54, v52
	v_add_u32_e32 v58, 0x6c, v52
	;; [unrolled: 1-line block ×3, first 2 shown]
                                        ; implicit-def: $vgpr0
                                        ; implicit-def: $vgpr1_vgpr2
; %bb.11:
	s_or_saveexec_b64 s[4:5], s[4:5]
	v_mul_u32_u24_e32 v3, 0x21d, v3
	v_lshlrev_b32_e32 v57, 4, v3
	s_xor_b64 exec, exec, s[4:5]
	s_cbranch_execz .LBB0_13
; %bb.12:
	s_add_u32 s6, s16, s6
	s_addc_u32 s7, s17, s7
	s_load_dwordx2 s[6:7], s[6:7], 0x0
	s_mov_b32 s14, 0x4bda130
	v_mul_hi_u32 v5, v0, s14
	s_waitcnt lgkmcnt(0)
	v_mul_lo_u32 v6, s7, v50
	v_mul_lo_u32 v7, s6, v51
	v_mad_u64_u32 v[3:4], s[6:7], s6, v50, 0
	v_mul_u32_u24_e32 v5, 54, v5
	v_sub_u32_e32 v52, v0, v5
	v_add3_u32 v4, v4, v7, v6
	v_lshlrev_b64 v[3:4], 4, v[3:4]
	v_mov_b32_e32 v0, s9
	v_add_co_u32_e32 v3, vcc, s8, v3
	v_addc_co_u32_e32 v4, vcc, v0, v4, vcc
	v_lshlrev_b64 v[0:1], 4, v[1:2]
	v_lshlrev_b32_e32 v44, 4, v52
	v_add_co_u32_e32 v0, vcc, v3, v0
	v_addc_co_u32_e32 v1, vcc, v4, v1, vcc
	v_add_co_u32_e32 v40, vcc, v0, v44
	v_addc_co_u32_e32 v41, vcc, 0, v1, vcc
	v_add_co_u32_e32 v42, vcc, 0x1000, v40
	global_load_dwordx4 v[0:3], v[40:41], off
	global_load_dwordx4 v[4:7], v[40:41], off offset:864
	global_load_dwordx4 v[8:11], v[40:41], off offset:1728
	global_load_dwordx4 v[12:15], v[40:41], off offset:2592
	v_addc_co_u32_e32 v43, vcc, 0, v41, vcc
	global_load_dwordx4 v[16:19], v[40:41], off offset:3456
	global_load_dwordx4 v[20:23], v[42:43], off offset:224
	;; [unrolled: 1-line block ×6, first 2 shown]
	v_add_u32_e32 v54, 54, v52
	v_add_u32_e32 v58, 0x6c, v52
	;; [unrolled: 1-line block ×3, first 2 shown]
	v_add3_u32 v40, 0, v57, v44
	s_waitcnt vmcnt(9)
	ds_write_b128 v40, v[0:3]
	s_waitcnt vmcnt(8)
	ds_write_b128 v40, v[4:7] offset:864
	s_waitcnt vmcnt(7)
	ds_write_b128 v40, v[8:11] offset:1728
	;; [unrolled: 2-line block ×9, first 2 shown]
.LBB0_13:
	s_or_b64 exec, exec, s[4:5]
	v_lshlrev_b32_e32 v53, 4, v52
	v_add_u32_e32 v61, 0, v57
	v_add3_u32 v55, 0, v53, v57
	s_load_dwordx2 s[6:7], s[2:3], 0x0
	s_waitcnt lgkmcnt(0)
	s_barrier
	v_add_u32_e32 v62, v61, v53
	ds_read_b128 v[0:3], v55 offset:2880
	ds_read_b128 v[4:7], v62
	ds_read_b128 v[20:23], v55 offset:864
	ds_read_b128 v[16:19], v55 offset:3744
	;; [unrolled: 1-line block ×4, first 2 shown]
	s_mov_b32 s2, 0xe8584caa
	s_waitcnt lgkmcnt(4)
	v_add_f64 v[12:13], v[4:5], v[0:1]
	v_add_f64 v[14:15], v[6:7], v[2:3]
	s_waitcnt lgkmcnt(1)
	v_add_f64 v[44:45], v[0:1], v[8:9]
	v_add_f64 v[59:60], v[2:3], v[10:11]
	v_add_f64 v[46:47], v[2:3], -v[10:11]
	v_add_f64 v[63:64], v[0:1], -v[8:9]
	ds_read_b128 v[0:3], v55 offset:4608
	ds_read_b128 v[32:35], v55 offset:1728
	s_waitcnt lgkmcnt(2)
	v_add_f64 v[69:70], v[16:17], v[24:25]
	v_add_f64 v[28:29], v[12:13], v[8:9]
	;; [unrolled: 1-line block ×5, first 2 shown]
	s_waitcnt lgkmcnt(0)
	v_add_f64 v[65:66], v[32:33], v[0:1]
	v_add_f64 v[67:68], v[34:35], v[2:3]
	v_fma_f64 v[4:5], v[44:45], -0.5, v[4:5]
	v_fma_f64 v[6:7], v[59:60], -0.5, v[6:7]
	v_add_f64 v[73:74], v[18:19], v[26:27]
	s_mov_b32 s3, 0xbfebb67a
	v_add_f64 v[36:37], v[12:13], v[24:25]
	v_add_f64 v[38:39], v[14:15], v[26:27]
	ds_read_b128 v[8:11], v55 offset:2592
	ds_read_b128 v[12:15], v55 offset:5472
	;; [unrolled: 1-line block ×3, first 2 shown]
	s_mov_b32 s5, 0x3febb67a
	s_mov_b32 s4, s2
	v_add_f64 v[71:72], v[18:19], -v[26:27]
	v_add_f64 v[75:76], v[16:17], -v[24:25]
	ds_read_b128 v[16:19], v55 offset:8352
	s_waitcnt lgkmcnt(1)
	v_add_f64 v[24:25], v[65:66], v[40:41]
	v_add_f64 v[26:27], v[67:68], v[42:43]
	;; [unrolled: 1-line block ×3, first 2 shown]
	v_add_f64 v[67:68], v[2:3], -v[42:43]
	v_add_f64 v[42:43], v[2:3], v[42:43]
	v_add_f64 v[40:41], v[0:1], -v[40:41]
	v_fma_f64 v[0:1], v[46:47], s[2:3], v[4:5]
	v_fma_f64 v[2:3], v[63:64], s[4:5], v[6:7]
	;; [unrolled: 1-line block ×4, first 2 shown]
	v_fma_f64 v[20:21], v[69:70], -0.5, v[20:21]
	v_fma_f64 v[22:23], v[73:74], -0.5, v[22:23]
	v_lshl_add_u32 v44, v52, 5, v55
	s_waitcnt lgkmcnt(0)
	s_barrier
	ds_write_b128 v44, v[28:31]
	ds_write_b128 v44, v[0:3] offset:16
	ds_write_b128 v44, v[4:7] offset:32
	v_add_f64 v[4:5], v[12:13], v[16:17]
	v_add_f64 v[6:7], v[14:15], v[18:19]
	v_fma_f64 v[0:1], v[71:72], s[2:3], v[20:21]
	v_fma_f64 v[28:29], v[71:72], s[4:5], v[20:21]
	v_mad_i32_i24 v20, v54, 48, 0
	v_fma_f64 v[2:3], v[75:76], s[4:5], v[22:23]
	v_fma_f64 v[30:31], v[75:76], s[2:3], v[22:23]
	v_add_u32_e32 v23, v20, v57
	ds_write_b128 v23, v[36:39]
	v_fma_f64 v[38:39], v[42:43], -0.5, v[34:35]
	v_fma_f64 v[4:5], v[4:5], -0.5, v[8:9]
	v_add_f64 v[42:43], v[14:15], -v[18:19]
	v_fma_f64 v[6:7], v[6:7], -0.5, v[10:11]
	v_add_f64 v[44:45], v[12:13], -v[16:17]
	v_fma_f64 v[21:22], v[65:66], -0.5, v[32:33]
	ds_write_b128 v23, v[0:3] offset:16
	v_cmp_gt_u32_e32 vcc, 18, v52
	v_fma_f64 v[34:35], v[40:41], s[4:5], v[38:39]
	v_fma_f64 v[38:39], v[40:41], s[2:3], v[38:39]
	;; [unrolled: 1-line block ×8, first 2 shown]
	v_mad_i32_i24 v21, v58, 48, 0
	v_add_u32_e32 v22, v21, v57
	ds_write_b128 v23, v[28:31] offset:32
	ds_write_b128 v22, v[24:27]
	ds_write_b128 v22, v[32:35] offset:16
	ds_write_b128 v22, v[36:39] offset:32
	s_and_saveexec_b64 s[2:3], vcc
	s_cbranch_execz .LBB0_15
; %bb.14:
	v_add_f64 v[10:11], v[10:11], v[14:15]
	v_add_f64 v[8:9], v[8:9], v[12:13]
	v_mul_i32_i24_e32 v12, 48, v56
	v_add3_u32 v12, 0, v12, v57
	v_add_f64 v[10:11], v[10:11], v[18:19]
	v_add_f64 v[8:9], v[8:9], v[16:17]
	ds_write_b128 v12, v[0:3] offset:16
	ds_write_b128 v12, v[8:11]
	ds_write_b128 v12, v[4:7] offset:32
.LBB0_15:
	s_or_b64 exec, exec, s[2:3]
	s_movk_i32 s2, 0xab
	v_mul_lo_u16_sdwa v8, v52, s2 dst_sel:DWORD dst_unused:UNUSED_PAD src0_sel:BYTE_0 src1_sel:DWORD
	v_lshrrev_b16_e32 v12, 9, v8
	v_mul_lo_u16_e32 v8, 3, v12
	v_sub_u16_e32 v13, v52, v8
	v_mov_b32_e32 v8, 9
	v_mul_u32_u24_sdwa v8, v13, v8 dst_sel:DWORD dst_unused:UNUSED_PAD src0_sel:BYTE_0 src1_sel:DWORD
	v_lshlrev_b32_e32 v18, 4, v8
	s_waitcnt lgkmcnt(0)
	s_barrier
	global_load_dwordx4 v[8:11], v18, s[12:13]
	global_load_dwordx4 v[14:17], v18, s[12:13] offset:16
	global_load_dwordx4 v[22:25], v18, s[12:13] offset:32
	;; [unrolled: 1-line block ×8, first 2 shown]
	v_lshlrev_b32_e32 v18, 5, v54
	v_lshlrev_b32_e32 v19, 5, v58
	v_sub_u32_e32 v18, v20, v18
	v_sub_u32_e32 v47, v21, v19
	v_lshlrev_b32_e32 v46, 4, v56
	v_add_u32_e32 v64, v18, v57
	v_add_u32_e32 v63, v47, v57
	ds_read_b128 v[69:72], v55 offset:3456
	ds_read_b128 v[73:76], v62
	ds_read_b128 v[77:80], v55 offset:4320
	ds_read_b128 v[81:84], v55 offset:5184
	;; [unrolled: 1-line block ×4, first 2 shown]
	v_add3_u32 v59, 0, v46, v57
	ds_read_b128 v[18:21], v64
	ds_read_b128 v[93:96], v63
	ds_read_b128 v[97:100], v55 offset:7776
	ds_read_b128 v[101:104], v59
	s_mov_b32 s14, 0x134454ff
	s_mov_b32 s15, 0xbfee6f0e
	;; [unrolled: 1-line block ×12, first 2 shown]
	s_waitcnt vmcnt(0) lgkmcnt(0)
	s_barrier
	v_mul_f64 v[46:47], v[20:21], v[10:11]
	v_mul_f64 v[10:11], v[18:19], v[10:11]
	v_mul_f64 v[105:106], v[95:96], v[16:17]
	v_mul_f64 v[16:17], v[93:94], v[16:17]
	v_mul_f64 v[107:108], v[103:104], v[24:25]
	v_mul_f64 v[24:25], v[101:102], v[24:25]
	v_mul_f64 v[109:110], v[71:72], v[28:29]
	v_mul_f64 v[28:29], v[69:70], v[28:29]
	v_mul_f64 v[111:112], v[79:80], v[32:33]
	v_mul_f64 v[32:33], v[77:78], v[32:33]
	v_mul_f64 v[113:114], v[83:84], v[36:37]
	v_mul_f64 v[115:116], v[87:88], v[40:41]
	v_mul_f64 v[117:118], v[89:90], v[44:45]
	v_mul_f64 v[40:41], v[85:86], v[40:41]
	v_mul_f64 v[44:45], v[91:92], v[44:45]
	v_mul_f64 v[36:37], v[81:82], v[36:37]
	v_fma_f64 v[18:19], v[18:19], v[8:9], v[46:47]
	v_fma_f64 v[8:9], v[20:21], v[8:9], -v[10:11]
	v_mul_f64 v[10:11], v[99:100], v[67:68]
	v_mul_f64 v[20:21], v[97:98], v[67:68]
	v_fma_f64 v[46:47], v[93:94], v[14:15], v[105:106]
	v_fma_f64 v[14:15], v[95:96], v[14:15], -v[16:17]
	v_fma_f64 v[16:17], v[101:102], v[22:23], v[107:108]
	v_fma_f64 v[22:23], v[103:104], v[22:23], -v[24:25]
	;; [unrolled: 2-line block ×4, first 2 shown]
	v_fma_f64 v[32:33], v[81:82], v[34:35], v[113:114]
	v_fma_f64 v[67:68], v[85:86], v[38:39], v[115:116]
	v_fma_f64 v[38:39], v[87:88], v[38:39], -v[40:41]
	v_fma_f64 v[40:41], v[89:90], v[42:43], v[44:45]
	v_fma_f64 v[34:35], v[83:84], v[34:35], -v[36:37]
	v_fma_f64 v[36:37], v[91:92], v[42:43], -v[117:118]
	v_add_f64 v[42:43], v[73:74], v[46:47]
	v_fma_f64 v[10:11], v[97:98], v[65:66], v[10:11]
	v_add_f64 v[44:45], v[24:25], v[32:33]
	v_add_f64 v[71:72], v[46:47], -v[24:25]
	v_add_f64 v[85:86], v[24:25], -v[46:47]
	v_add_f64 v[79:80], v[46:47], v[40:41]
	v_add_f64 v[69:70], v[26:27], -v[34:35]
	v_add_f64 v[81:82], v[26:27], v[34:35]
	v_add_f64 v[89:90], v[75:76], v[14:15]
	v_add_f64 v[97:98], v[24:25], -v[32:33]
	v_fma_f64 v[44:45], v[44:45], -0.5, v[73:74]
	v_add_f64 v[24:25], v[42:43], v[24:25]
	v_fma_f64 v[20:21], v[99:100], v[65:66], -v[20:21]
	v_fma_f64 v[73:74], v[79:80], -0.5, v[73:74]
	v_add_f64 v[65:66], v[14:15], -v[36:37]
	v_add_f64 v[77:78], v[40:41], -v[32:33]
	v_add_f64 v[83:84], v[14:15], v[36:37]
	v_add_f64 v[87:88], v[32:33], -v[40:41]
	v_add_f64 v[46:47], v[46:47], -v[40:41]
	;; [unrolled: 1-line block ×4, first 2 shown]
	v_fma_f64 v[79:80], v[81:82], -0.5, v[75:76]
	v_add_f64 v[26:27], v[89:90], v[26:27]
	v_add_f64 v[24:25], v[24:25], v[32:33]
	v_fma_f64 v[32:33], v[69:70], s[4:5], v[73:74]
	v_add_f64 v[93:94], v[36:37], -v[34:35]
	v_add_f64 v[95:96], v[18:19], v[16:17]
	v_add_f64 v[99:100], v[34:35], -v[36:37]
	v_add_f64 v[101:102], v[28:29], v[67:68]
	v_fma_f64 v[75:76], v[83:84], -0.5, v[75:76]
	v_add_f64 v[42:43], v[71:72], v[77:78]
	v_add_f64 v[71:72], v[85:86], v[87:88]
	v_fma_f64 v[83:84], v[65:66], s[14:15], v[44:45]
	v_fma_f64 v[44:45], v[65:66], s[4:5], v[44:45]
	;; [unrolled: 1-line block ×3, first 2 shown]
	v_add_f64 v[26:27], v[26:27], v[34:35]
	v_fma_f64 v[34:35], v[46:47], s[4:5], v[79:80]
	v_fma_f64 v[79:80], v[46:47], s[14:15], v[79:80]
	;; [unrolled: 1-line block ×3, first 2 shown]
	v_add_f64 v[77:78], v[91:92], v[93:94]
	v_add_f64 v[81:82], v[95:96], v[28:29]
	v_fma_f64 v[85:86], v[97:98], s[14:15], v[75:76]
	v_fma_f64 v[75:76], v[97:98], s[4:5], v[75:76]
	;; [unrolled: 1-line block ×5, first 2 shown]
	v_add_f64 v[24:25], v[24:25], v[40:41]
	v_add_f64 v[26:27], v[26:27], v[36:37]
	v_fma_f64 v[34:35], v[97:98], s[8:9], v[34:35]
	v_fma_f64 v[36:37], v[97:98], s[2:3], v[79:80]
	;; [unrolled: 1-line block ×3, first 2 shown]
	v_fma_f64 v[32:33], v[101:102], -0.5, v[18:19]
	v_add_f64 v[40:41], v[22:23], -v[20:21]
	v_fma_f64 v[69:70], v[42:43], s[16:17], v[83:84]
	v_fma_f64 v[73:74], v[42:43], s[16:17], v[44:45]
	;; [unrolled: 1-line block ×6, first 2 shown]
	v_add_f64 v[14:15], v[14:15], v[99:100]
	v_fma_f64 v[36:37], v[46:47], s[2:3], v[75:76]
	v_add_f64 v[42:43], v[81:82], v[67:68]
	v_fma_f64 v[46:47], v[40:41], s[14:15], v[32:33]
	v_add_f64 v[65:66], v[30:31], v[38:39]
	v_add_f64 v[75:76], v[30:31], -v[38:39]
	v_add_f64 v[44:45], v[16:17], v[10:11]
	v_add_f64 v[81:82], v[16:17], -v[28:29]
	v_add_f64 v[85:86], v[10:11], -v[67:68]
	v_fma_f64 v[87:88], v[14:15], s[16:17], v[34:35]
	v_fma_f64 v[14:15], v[14:15], s[16:17], v[36:37]
	v_add_f64 v[89:90], v[42:43], v[10:11]
	v_fma_f64 v[34:35], v[65:66], -0.5, v[8:9]
	v_add_f64 v[36:37], v[16:17], -v[10:11]
	v_fma_f64 v[42:43], v[75:76], s[2:3], v[46:47]
	v_add_f64 v[46:47], v[22:23], v[20:21]
	v_fma_f64 v[18:19], v[44:45], -0.5, v[18:19]
	v_add_f64 v[44:45], v[81:82], v[85:86]
	v_fma_f64 v[32:33], v[40:41], s[4:5], v[32:33]
	v_add_f64 v[16:17], v[28:29], -v[16:17]
	v_add_f64 v[10:11], v[67:68], -v[10:11]
	v_fma_f64 v[81:82], v[36:37], s[4:5], v[34:35]
	v_add_f64 v[28:29], v[28:29], -v[67:68]
	v_add_f64 v[67:68], v[22:23], -v[30:31]
	;; [unrolled: 1-line block ×3, first 2 shown]
	v_fma_f64 v[46:47], v[46:47], -0.5, v[8:9]
	v_add_f64 v[8:9], v[8:9], v[22:23]
	v_fma_f64 v[65:66], v[75:76], s[4:5], v[18:19]
	v_fma_f64 v[32:33], v[75:76], s[8:9], v[32:33]
	;; [unrolled: 1-line block ×4, first 2 shown]
	v_add_f64 v[22:23], v[30:31], -v[22:23]
	v_add_f64 v[67:68], v[67:68], v[85:86]
	v_fma_f64 v[81:82], v[28:29], s[14:15], v[46:47]
	v_add_f64 v[85:86], v[38:39], -v[20:21]
	v_fma_f64 v[46:47], v[28:29], s[4:5], v[46:47]
	v_add_f64 v[8:9], v[8:9], v[30:31]
	v_fma_f64 v[30:31], v[36:37], s[14:15], v[34:35]
	v_fma_f64 v[65:66], v[40:41], s[2:3], v[65:66]
	v_add_f64 v[10:11], v[16:17], v[10:11]
	v_fma_f64 v[16:17], v[40:41], s[8:9], v[18:19]
	;; [unrolled: 3-line block ×3, first 2 shown]
	v_add_f64 v[8:9], v[8:9], v[38:39]
	v_fma_f64 v[28:29], v[28:29], s[2:3], v[30:31]
	v_fma_f64 v[18:19], v[67:68], s[16:17], v[75:76]
	;; [unrolled: 1-line block ×7, first 2 shown]
	v_add_f64 v[75:76], v[8:9], v[20:21]
	v_fma_f64 v[8:9], v[67:68], s[16:17], v[28:29]
	v_fma_f64 v[10:11], v[10:11], s[16:17], v[16:17]
	v_mul_f64 v[16:17], v[18:19], s[2:3]
	v_mul_f64 v[18:19], v[18:19], s[18:19]
	v_add_f64 v[28:29], v[24:25], v[89:90]
	v_mul_f64 v[20:21], v[32:33], s[14:15]
	v_mul_f64 v[34:35], v[22:23], s[14:15]
	s_mov_b32 s15, 0xbfd3c6ef
	s_mov_b32 s14, s16
	v_mul_f64 v[40:41], v[32:33], s[16:17]
	v_mul_f64 v[36:37], v[8:9], s[2:3]
	s_mov_b32 s3, 0xbfe9e377
	s_mov_b32 s2, s18
	v_mul_f64 v[22:23], v[22:23], s[14:15]
	v_mul_f64 v[8:9], v[8:9], s[2:3]
	v_fma_f64 v[16:17], v[42:43], s[18:19], v[16:17]
	v_fma_f64 v[18:19], v[42:43], s[8:9], v[18:19]
	;; [unrolled: 1-line block ×8, first 2 shown]
	v_add_f64 v[30:31], v[26:27], v[75:76]
	v_add_f64 v[32:33], v[69:70], v[16:17]
	;; [unrolled: 1-line block ×9, first 2 shown]
	v_add_f64 v[65:66], v[24:25], -v[89:90]
	v_add_f64 v[8:9], v[69:70], -v[16:17]
	;; [unrolled: 1-line block ×6, first 2 shown]
	s_movk_i32 s2, 0x1e0
	v_mov_b32_e32 v14, 4
	v_add_f64 v[10:11], v[83:84], -v[18:19]
	v_mad_u32_u24 v12, v12, s2, 0
	v_lshlrev_b32_sdwa v13, v14, v13 dst_sel:DWORD dst_unused:UNUSED_PAD src0_sel:DWORD src1_sel:BYTE_0
	v_add_f64 v[18:19], v[87:88], -v[85:86]
	v_add3_u32 v12, v12, v13, v57
	v_add_f64 v[24:25], v[73:74], -v[81:82]
	v_add_f64 v[26:27], v[77:78], -v[91:92]
	ds_write_b128 v12, v[28:31]
	ds_write_b128 v12, v[32:35] offset:48
	ds_write_b128 v12, v[36:39] offset:96
	;; [unrolled: 1-line block ×9, first 2 shown]
	s_waitcnt lgkmcnt(0)
	s_barrier
	ds_read_b128 v[12:15], v62
	ds_read_b128 v[44:47], v55 offset:1440
	ds_read_b128 v[40:43], v55 offset:2880
	;; [unrolled: 1-line block ×5, first 2 shown]
	v_cmp_gt_u32_e64 s[2:3], 36, v52
	s_and_saveexec_b64 s[4:5], s[2:3]
	s_cbranch_execz .LBB0_17
; %bb.16:
	ds_read_b128 v[16:19], v55 offset:2304
	ds_read_b128 v[20:23], v55 offset:3744
	;; [unrolled: 1-line block ×4, first 2 shown]
	ds_read_b128 v[8:11], v64
	ds_read_b128 v[4:7], v55 offset:8064
.LBB0_17:
	s_or_b64 exec, exec, s[4:5]
	v_subrev_u32_e32 v60, 30, v52
	v_cmp_gt_u32_e64 s[4:5], 30, v52
	v_cndmask_b32_e64 v120, v60, v52, s[4:5]
	v_mul_i32_i24_e32 v65, 5, v120
	v_mov_b32_e32 v66, 0
	v_lshlrev_b64 v[65:66], 4, v[65:66]
	v_mov_b32_e32 v60, s13
	v_add_co_u32_e64 v82, s[4:5], s12, v65
	v_addc_co_u32_e64 v83, s[4:5], v60, v66, s[4:5]
	s_movk_i32 s4, 0x89
	v_mul_lo_u16_sdwa v60, v54, s4 dst_sel:DWORD dst_unused:UNUSED_PAD src0_sel:BYTE_0 src1_sel:DWORD
	v_lshrrev_b16_e32 v60, 12, v60
	v_mul_lo_u16_e32 v65, 30, v60
	v_sub_u16_e32 v65, v54, v65
	v_mov_b32_e32 v84, 5
	global_load_dwordx4 v[66:69], v[82:83], off offset:480
	global_load_dwordx4 v[70:73], v[82:83], off offset:464
	;; [unrolled: 1-line block ×4, first 2 shown]
	v_mul_u32_u24_sdwa v86, v65, v84 dst_sel:DWORD dst_unused:UNUSED_PAD src0_sel:BYTE_0 src1_sel:DWORD
	global_load_dwordx4 v[82:85], v[82:83], off offset:496
	v_lshlrev_b32_e32 v106, 4, v86
	global_load_dwordx4 v[86:89], v106, s[12:13] offset:432
	global_load_dwordx4 v[90:93], v106, s[12:13] offset:448
	;; [unrolled: 1-line block ×5, first 2 shown]
	s_mov_b32 s4, 0xe8584caa
	s_mov_b32 s5, 0xbfebb67a
	;; [unrolled: 1-line block ×4, first 2 shown]
	s_waitcnt vmcnt(0) lgkmcnt(0)
	s_barrier
	v_mul_f64 v[112:113], v[34:35], v[68:69]
	v_mul_f64 v[110:111], v[38:39], v[72:73]
	;; [unrolled: 1-line block ×14, first 2 shown]
	v_fma_f64 v[44:45], v[44:45], v[78:79], v[106:107]
	v_fma_f64 v[46:47], v[46:47], v[78:79], -v[80:81]
	v_mul_f64 v[78:79], v[26:27], v[96:97]
	v_mul_f64 v[80:81], v[24:25], v[96:97]
	;; [unrolled: 1-line block ×3, first 2 shown]
	v_fma_f64 v[40:41], v[40:41], v[74:75], v[108:109]
	v_fma_f64 v[42:43], v[42:43], v[74:75], -v[76:77]
	v_mul_f64 v[74:75], v[6:7], v[104:105]
	v_fma_f64 v[38:39], v[38:39], v[70:71], -v[72:73]
	v_fma_f64 v[30:31], v[30:31], v[82:83], -v[84:85]
	v_mul_f64 v[100:101], v[0:1], v[100:101]
	v_mul_f64 v[76:77], v[4:5], v[104:105]
	v_fma_f64 v[36:37], v[36:37], v[70:71], v[110:111]
	v_fma_f64 v[32:33], v[32:33], v[66:67], v[112:113]
	v_fma_f64 v[34:35], v[34:35], v[66:67], -v[68:69]
	v_fma_f64 v[28:29], v[28:29], v[82:83], v[114:115]
	v_fma_f64 v[72:73], v[18:19], v[86:87], -v[88:89]
	;; [unrolled: 2-line block ×4, first 2 shown]
	v_fma_f64 v[0:1], v[0:1], v[98:99], v[96:97]
	v_fma_f64 v[4:5], v[4:5], v[102:103], v[74:75]
	v_add_f64 v[78:79], v[38:39], -v[30:31]
	v_add_f64 v[80:81], v[46:47], v[38:39]
	v_add_f64 v[38:39], v[38:39], v[30:31]
	v_fma_f64 v[16:17], v[16:17], v[86:87], v[116:117]
	v_fma_f64 v[2:3], v[2:3], v[98:99], -v[100:101]
	v_fma_f64 v[6:7], v[6:7], v[102:103], -v[76:77]
	v_add_f64 v[26:27], v[12:13], v[40:41]
	v_add_f64 v[66:67], v[40:41], v[32:33]
	v_add_f64 v[68:69], v[42:43], -v[34:35]
	v_add_f64 v[70:71], v[14:15], v[42:43]
	v_add_f64 v[42:43], v[42:43], v[34:35]
	;; [unrolled: 1-line block ×4, first 2 shown]
	v_add_f64 v[36:37], v[36:37], -v[28:29]
	v_add_f64 v[82:83], v[8:9], v[18:19]
	v_add_f64 v[84:85], v[18:19], v[0:1]
	v_add_f64 v[90:91], v[18:19], -v[0:1]
	v_add_f64 v[18:19], v[22:23], v[4:5]
	v_fma_f64 v[38:39], v[38:39], -0.5, v[46:47]
	v_add_f64 v[40:41], v[40:41], -v[32:33]
	v_add_f64 v[86:87], v[20:21], -v[2:3]
	v_add_f64 v[88:89], v[10:11], v[20:21]
	v_add_f64 v[20:21], v[20:21], v[2:3]
	;; [unrolled: 1-line block ×4, first 2 shown]
	v_fma_f64 v[32:33], v[66:67], -0.5, v[12:13]
	v_fma_f64 v[42:43], v[42:43], -0.5, v[14:15]
	v_add_f64 v[28:29], v[74:75], v[28:29]
	v_fma_f64 v[44:45], v[76:77], -0.5, v[44:45]
	v_add_f64 v[12:13], v[82:83], v[0:1]
	v_fma_f64 v[0:1], v[84:85], -0.5, v[8:9]
	v_fma_f64 v[8:9], v[18:19], -0.5, v[16:17]
	v_fma_f64 v[18:19], v[36:37], s[4:5], v[38:39]
	v_add_f64 v[92:93], v[16:17], v[22:23]
	v_add_f64 v[22:23], v[22:23], -v[4:5]
	v_add_f64 v[30:31], v[80:81], v[30:31]
	v_add_f64 v[14:15], v[88:89], v[2:3]
	v_fma_f64 v[2:3], v[20:21], -0.5, v[10:11]
	v_fma_f64 v[10:11], v[96:97], -0.5, v[72:73]
	v_fma_f64 v[76:77], v[40:41], s[8:9], v[42:43]
	v_fma_f64 v[16:17], v[36:37], s[8:9], v[38:39]
	;; [unrolled: 1-line block ×5, first 2 shown]
	v_add_f64 v[36:37], v[26:27], v[28:29]
	v_add_f64 v[40:41], v[26:27], -v[28:29]
	v_mul_f64 v[28:29], v[18:19], s[4:5]
	v_add_f64 v[94:95], v[24:25], -v[6:7]
	v_add_f64 v[34:35], v[70:71], v[34:35]
	v_fma_f64 v[20:21], v[68:69], s[4:5], v[32:33]
	v_fma_f64 v[32:33], v[68:69], s[8:9], v[32:33]
	v_mul_f64 v[26:27], v[16:17], s[4:5]
	v_mul_f64 v[66:67], v[16:17], 0.5
	v_mul_f64 v[68:69], v[18:19], -0.5
	v_fma_f64 v[16:17], v[86:87], s[4:5], v[0:1]
	v_fma_f64 v[18:19], v[86:87], s[8:9], v[0:1]
	;; [unrolled: 1-line block ×3, first 2 shown]
	v_fma_f64 v[28:29], v[44:45], -0.5, v[28:29]
	v_fma_f64 v[10:11], v[22:23], s[4:5], v[10:11]
	v_add_f64 v[38:39], v[34:35], v[30:31]
	v_add_f64 v[42:43], v[34:35], -v[30:31]
	v_fma_f64 v[26:27], v[46:47], 0.5, v[26:27]
	v_fma_f64 v[78:79], v[46:47], s[8:9], v[66:67]
	v_fma_f64 v[34:35], v[94:95], s[4:5], v[8:9]
	;; [unrolled: 1-line block ×3, first 2 shown]
	v_mul_f64 v[22:23], v[0:1], s[4:5]
	v_add_f64 v[66:67], v[32:33], v[28:29]
	v_add_f64 v[74:75], v[32:33], -v[28:29]
	v_mul_f64 v[28:29], v[10:11], s[4:5]
	v_add_f64 v[32:33], v[72:73], v[24:25]
	v_mul_f64 v[0:1], v[0:1], 0.5
	v_mul_f64 v[10:11], v[10:11], -0.5
	v_fma_f64 v[82:83], v[44:45], s[8:9], v[68:69]
	v_add_f64 v[44:45], v[20:21], v[26:27]
	v_add_f64 v[70:71], v[20:21], -v[26:27]
	v_fma_f64 v[26:27], v[90:91], s[8:9], v[2:3]
	v_fma_f64 v[30:31], v[90:91], s[4:5], v[2:3]
	v_add_f64 v[20:21], v[92:93], v[4:5]
	v_fma_f64 v[22:23], v[34:35], 0.5, v[22:23]
	v_fma_f64 v[24:25], v[8:9], -0.5, v[28:29]
	v_add_f64 v[28:29], v[32:33], v[6:7]
	v_fma_f64 v[32:33], v[34:35], s[8:9], v[0:1]
	v_fma_f64 v[34:35], v[8:9], s[8:9], v[10:11]
	v_add_f64 v[46:47], v[76:77], v[78:79]
	v_add_f64 v[68:69], v[80:81], v[82:83]
	v_add_f64 v[0:1], v[12:13], -v[20:21]
	v_add_f64 v[4:5], v[16:17], -v[22:23]
	;; [unrolled: 1-line block ×7, first 2 shown]
	v_mov_b32_e32 v78, 0xb40
	v_cmp_lt_u32_e64 s[4:5], 29, v52
	v_add_f64 v[76:77], v[80:81], -v[82:83]
	v_cndmask_b32_e64 v78, 0, v78, s[4:5]
	v_add_u32_e32 v78, 0, v78
	v_lshlrev_b32_e32 v79, 4, v120
	s_movk_i32 s8, 0xb40
	v_add3_u32 v78, v78, v79, v57
	ds_write_b128 v78, v[36:39]
	ds_write_b128 v78, v[44:47] offset:480
	ds_write_b128 v78, v[66:69] offset:960
	;; [unrolled: 1-line block ×5, first 2 shown]
	s_and_saveexec_b64 s[4:5], s[2:3]
	s_cbranch_execz .LBB0_19
; %bb.18:
	v_add_f64 v[14:15], v[14:15], v[28:29]
	v_add_f64 v[12:13], v[12:13], v[20:21]
	;; [unrolled: 1-line block ×6, first 2 shown]
	v_mov_b32_e32 v17, 4
	v_mad_u32_u24 v16, v60, s8, 0
	v_lshlrev_b32_sdwa v17, v17, v65 dst_sel:DWORD dst_unused:UNUSED_PAD src0_sel:DWORD src1_sel:BYTE_0
	v_add3_u32 v16, v16, v17, v57
	ds_write_b128 v16, v[12:15]
	ds_write_b128 v16, v[32:35] offset:480
	ds_write_b128 v16, v[28:31] offset:960
	;; [unrolled: 1-line block ×5, first 2 shown]
.LBB0_19:
	s_or_b64 exec, exec, s[4:5]
	s_waitcnt lgkmcnt(0)
	s_barrier
	ds_read_b128 v[16:19], v62
	ds_read_b128 v[40:43], v55 offset:2880
	ds_read_b128 v[28:31], v55 offset:5760
	;; [unrolled: 1-line block ×3, first 2 shown]
	ds_read_b128 v[12:15], v63
	ds_read_b128 v[44:47], v55 offset:3744
	ds_read_b128 v[32:35], v55 offset:4608
	ds_read_b128 v[20:23], v64
	ds_read_b128 v[36:39], v55 offset:7488
	s_and_saveexec_b64 s[2:3], vcc
	s_cbranch_execz .LBB0_21
; %bb.20:
	ds_read_b128 v[0:3], v59
	ds_read_b128 v[4:7], v55 offset:5472
	ds_read_b128 v[8:11], v55 offset:8352
.LBB0_21:
	s_or_b64 exec, exec, s[2:3]
	v_lshlrev_b32_e32 v59, 1, v52
	v_mov_b32_e32 v60, 0
	v_lshlrev_b64 v[65:66], 4, v[59:60]
	v_mov_b32_e32 v57, s13
	v_add_co_u32_e64 v73, s[2:3], s12, v65
	v_addc_co_u32_e64 v74, s[2:3], v57, v66, s[2:3]
	v_lshlrev_b32_e32 v59, 1, v54
	global_load_dwordx4 v[65:68], v[73:74], off offset:2848
	global_load_dwordx4 v[69:72], v[73:74], off offset:2832
	v_lshlrev_b64 v[73:74], 4, v[59:60]
	v_lshlrev_b32_e32 v59, 1, v58
	v_add_co_u32_e64 v81, s[2:3], s12, v73
	v_addc_co_u32_e64 v82, s[2:3], v57, v74, s[2:3]
	global_load_dwordx4 v[73:76], v[81:82], off offset:2848
	global_load_dwordx4 v[77:80], v[81:82], off offset:2832
	v_lshlrev_b64 v[81:82], 4, v[59:60]
	s_mov_b32 s5, 0x3febb67a
	v_add_co_u32_e64 v89, s[2:3], s12, v81
	v_addc_co_u32_e64 v90, s[2:3], v57, v82, s[2:3]
	global_load_dwordx4 v[81:84], v[89:90], off offset:2832
	global_load_dwordx4 v[85:88], v[89:90], off offset:2848
	s_mov_b32 s2, 0xe8584caa
	s_mov_b32 s3, 0xbfebb67a
	;; [unrolled: 1-line block ×3, first 2 shown]
	s_waitcnt vmcnt(0) lgkmcnt(0)
	s_barrier
	v_mul_f64 v[91:92], v[30:31], v[67:68]
	v_mul_f64 v[89:90], v[42:43], v[71:72]
	;; [unrolled: 1-line block ×8, first 2 shown]
	v_fma_f64 v[40:41], v[40:41], v[69:70], v[89:90]
	v_fma_f64 v[42:43], v[42:43], v[69:70], -v[71:72]
	v_fma_f64 v[28:29], v[28:29], v[65:66], v[91:92]
	v_mul_f64 v[97:98], v[34:35], v[83:84]
	v_mul_f64 v[83:84], v[32:33], v[83:84]
	;; [unrolled: 1-line block ×4, first 2 shown]
	v_fma_f64 v[30:31], v[30:31], v[65:66], -v[67:68]
	v_fma_f64 v[44:45], v[44:45], v[77:78], v[93:94]
	v_fma_f64 v[46:47], v[46:47], v[77:78], -v[79:80]
	v_fma_f64 v[65:66], v[24:25], v[73:74], v[95:96]
	;; [unrolled: 2-line block ×4, first 2 shown]
	v_fma_f64 v[34:35], v[38:39], v[85:86], -v[87:88]
	v_add_f64 v[36:37], v[16:17], v[40:41]
	v_add_f64 v[38:39], v[40:41], v[28:29]
	v_add_f64 v[69:70], v[42:43], -v[30:31]
	v_add_f64 v[71:72], v[18:19], v[42:43]
	v_add_f64 v[42:43], v[42:43], v[30:31]
	;; [unrolled: 1-line block ×3, first 2 shown]
	v_add_f64 v[77:78], v[46:47], -v[67:68]
	v_add_f64 v[79:80], v[22:23], v[46:47]
	v_add_f64 v[46:47], v[46:47], v[67:68]
	;; [unrolled: 1-line block ×4, first 2 shown]
	v_add_f64 v[40:41], v[40:41], -v[28:29]
	v_add_f64 v[81:82], v[12:13], v[24:25]
	v_add_f64 v[85:86], v[26:27], -v[34:35]
	v_add_f64 v[87:88], v[14:15], v[26:27]
	;; [unrolled: 2-line block ×3, first 2 shown]
	v_fma_f64 v[28:29], v[38:39], -0.5, v[16:17]
	v_add_f64 v[26:27], v[71:72], v[30:31]
	v_fma_f64 v[30:31], v[42:43], -0.5, v[18:19]
	v_add_f64 v[73:74], v[20:21], v[44:45]
	v_add_f64 v[44:45], v[44:45], -v[65:66]
	v_fma_f64 v[36:37], v[75:76], -0.5, v[20:21]
	v_fma_f64 v[38:39], v[46:47], -0.5, v[22:23]
	;; [unrolled: 1-line block ×4, first 2 shown]
	v_fma_f64 v[12:13], v[69:70], s[2:3], v[28:29]
	v_fma_f64 v[14:15], v[40:41], s[4:5], v[30:31]
	;; [unrolled: 1-line block ×4, first 2 shown]
	v_add_f64 v[16:17], v[73:74], v[65:66]
	v_add_f64 v[18:19], v[79:80], v[67:68]
	ds_write_b128 v55, v[24:27]
	v_fma_f64 v[24:25], v[77:78], s[2:3], v[36:37]
	v_fma_f64 v[26:27], v[44:45], s[4:5], v[38:39]
	v_add_f64 v[20:21], v[81:82], v[32:33]
	v_add_f64 v[22:23], v[87:88], v[34:35]
	v_fma_f64 v[32:33], v[77:78], s[4:5], v[36:37]
	v_fma_f64 v[34:35], v[44:45], s[2:3], v[38:39]
	;; [unrolled: 1-line block ×6, first 2 shown]
	ds_write_b128 v55, v[12:15] offset:2880
	ds_write_b128 v55, v[28:31] offset:5760
	ds_write_b128 v64, v[16:19]
	ds_write_b128 v64, v[24:27] offset:2880
	ds_write_b128 v64, v[32:35] offset:5760
	ds_write_b128 v63, v[20:23]
	ds_write_b128 v63, v[36:39] offset:2880
	ds_write_b128 v63, v[40:43] offset:5760
	s_and_saveexec_b64 s[8:9], vcc
	s_cbranch_execz .LBB0_23
; %bb.22:
	v_subrev_u32_e32 v12, 18, v52
	v_cndmask_b32_e32 v12, v12, v56, vcc
	v_lshlrev_b32_e32 v59, 1, v12
	v_lshlrev_b64 v[12:13], 4, v[59:60]
	v_mov_b32_e32 v14, s13
	v_add_co_u32_e32 v20, vcc, s12, v12
	v_addc_co_u32_e32 v21, vcc, v14, v13, vcc
	global_load_dwordx4 v[12:15], v[20:21], off offset:2832
	global_load_dwordx4 v[16:19], v[20:21], off offset:2848
	s_waitcnt vmcnt(1)
	v_mul_f64 v[20:21], v[4:5], v[14:15]
	s_waitcnt vmcnt(0)
	v_mul_f64 v[22:23], v[8:9], v[18:19]
	v_mul_f64 v[14:15], v[6:7], v[14:15]
	;; [unrolled: 1-line block ×3, first 2 shown]
	v_fma_f64 v[6:7], v[6:7], v[12:13], -v[20:21]
	v_fma_f64 v[10:11], v[10:11], v[16:17], -v[22:23]
	v_fma_f64 v[4:5], v[4:5], v[12:13], v[14:15]
	v_fma_f64 v[8:9], v[8:9], v[16:17], v[18:19]
	v_add_f64 v[18:19], v[2:3], v[6:7]
	v_add_f64 v[12:13], v[6:7], v[10:11]
	v_add_f64 v[20:21], v[6:7], -v[10:11]
	v_add_f64 v[14:15], v[4:5], v[8:9]
	v_add_f64 v[16:17], v[4:5], -v[8:9]
	v_add_f64 v[4:5], v[0:1], v[4:5]
	v_fma_f64 v[12:13], v[12:13], -0.5, v[2:3]
	v_add_f64 v[2:3], v[18:19], v[10:11]
	v_fma_f64 v[14:15], v[14:15], -0.5, v[0:1]
	v_add_f64 v[0:1], v[4:5], v[8:9]
	v_fma_f64 v[10:11], v[16:17], s[4:5], v[12:13]
	v_fma_f64 v[6:7], v[16:17], s[2:3], v[12:13]
	v_fma_f64 v[8:9], v[20:21], s[2:3], v[14:15]
	v_fma_f64 v[4:5], v[20:21], s[4:5], v[14:15]
	ds_write_b128 v55, v[0:3] offset:2592
	ds_write_b128 v55, v[8:11] offset:5472
	;; [unrolled: 1-line block ×3, first 2 shown]
.LBB0_23:
	s_or_b64 exec, exec, s[8:9]
	s_waitcnt lgkmcnt(0)
	s_barrier
	ds_read_b128 v[0:3], v62
	s_add_u32 s4, s12, 0x2190
	s_addc_u32 s5, s13, 0
	v_sub_u32_e32 v10, v61, v53
	v_cmp_ne_u32_e32 vcc, 0, v52
                                        ; implicit-def: $vgpr8_vgpr9
                                        ; implicit-def: $vgpr6_vgpr7
                                        ; implicit-def: $vgpr4_vgpr5
	s_and_saveexec_b64 s[2:3], vcc
	s_xor_b64 s[2:3], exec, s[2:3]
	s_cbranch_execz .LBB0_25
; %bb.24:
	v_mov_b32_e32 v53, 0
	v_lshlrev_b64 v[4:5], 4, v[52:53]
	v_mov_b32_e32 v6, s5
	v_add_co_u32_e32 v4, vcc, s4, v4
	v_addc_co_u32_e32 v5, vcc, v6, v5, vcc
	global_load_dwordx4 v[4:7], v[4:5], off
	ds_read_b128 v[11:14], v10 offset:8640
	s_waitcnt lgkmcnt(0)
	v_add_f64 v[8:9], v[0:1], -v[11:12]
	v_add_f64 v[15:16], v[2:3], v[13:14]
	v_add_f64 v[2:3], v[2:3], -v[13:14]
	v_add_f64 v[0:1], v[0:1], v[11:12]
	v_mul_f64 v[8:9], v[8:9], 0.5
	v_mul_f64 v[13:14], v[15:16], 0.5
	;; [unrolled: 1-line block ×3, first 2 shown]
	s_waitcnt vmcnt(0)
	v_mul_f64 v[11:12], v[8:9], v[6:7]
	v_fma_f64 v[15:16], v[13:14], v[6:7], v[2:3]
	v_fma_f64 v[2:3], v[13:14], v[6:7], -v[2:3]
	v_fma_f64 v[6:7], v[0:1], 0.5, v[11:12]
	v_fma_f64 v[0:1], v[0:1], 0.5, -v[11:12]
	v_fma_f64 v[11:12], -v[4:5], v[8:9], v[15:16]
	v_fma_f64 v[2:3], -v[4:5], v[8:9], v[2:3]
	ds_write_b64 v62, v[11:12] offset:8
	ds_write_b64 v10, v[2:3] offset:8648
	v_fma_f64 v[6:7], v[13:14], v[4:5], v[6:7]
	v_fma_f64 v[8:9], -v[13:14], v[4:5], v[0:1]
	v_mov_b32_e32 v4, v52
	v_mov_b32_e32 v5, v53
                                        ; implicit-def: $vgpr0_vgpr1
.LBB0_25:
	s_andn2_saveexec_b64 s[2:3], s[2:3]
	s_cbranch_execz .LBB0_27
; %bb.26:
	s_mov_b32 s8, 0
	s_mov_b32 s9, s8
	v_mov_b32_e32 v4, s8
	s_waitcnt lgkmcnt(0)
	v_add_f64 v[6:7], v[0:1], v[2:3]
	v_mov_b32_e32 v5, s9
	v_add_f64 v[8:9], v[0:1], -v[2:3]
	ds_write_b64 v62, v[4:5] offset:8
	ds_write_b64 v10, v[4:5] offset:8648
	ds_read_b64 v[0:1], v61 offset:4328
	v_mov_b32_e32 v4, 0
	v_mov_b32_e32 v5, 0
	s_waitcnt lgkmcnt(0)
	v_xor_b32_e32 v1, 0x80000000, v1
	ds_write_b64 v61, v[0:1] offset:4328
.LBB0_27:
	s_or_b64 exec, exec, s[2:3]
	v_mov_b32_e32 v55, 0
	s_waitcnt lgkmcnt(0)
	v_lshlrev_b64 v[0:1], 4, v[54:55]
	v_mov_b32_e32 v2, s5
	v_add_co_u32_e32 v0, vcc, s4, v0
	v_addc_co_u32_e32 v1, vcc, v2, v1, vcc
	global_load_dwordx4 v[0:3], v[0:1], off
	v_mov_b32_e32 v59, v55
	v_lshlrev_b64 v[11:12], 4, v[58:59]
	v_mov_b32_e32 v13, s5
	v_add_co_u32_e32 v11, vcc, s4, v11
	v_addc_co_u32_e32 v12, vcc, v13, v12, vcc
	global_load_dwordx4 v[11:14], v[11:12], off
	ds_write_b64 v62, v[6:7]
	ds_write_b64 v10, v[8:9] offset:8640
	v_lshl_add_u32 v27, v54, 4, v61
	ds_read_b128 v[6:9], v27
	ds_read_b128 v[15:18], v10 offset:7776
	v_mov_b32_e32 v57, v55
	v_mov_b32_e32 v28, s5
	v_lshlrev_b64 v[4:5], 4, v[4:5]
	s_waitcnt lgkmcnt(0)
	v_add_f64 v[19:20], v[6:7], -v[15:16]
	v_add_f64 v[21:22], v[8:9], v[17:18]
	v_add_f64 v[8:9], v[8:9], -v[17:18]
	v_add_f64 v[6:7], v[6:7], v[15:16]
	v_mul_f64 v[17:18], v[19:20], 0.5
	v_mul_f64 v[19:20], v[21:22], 0.5
	;; [unrolled: 1-line block ×3, first 2 shown]
	v_lshlrev_b64 v[21:22], 4, v[56:57]
	s_waitcnt vmcnt(1)
	v_mul_f64 v[15:16], v[17:18], v[2:3]
	v_fma_f64 v[23:24], v[19:20], v[2:3], v[8:9]
	v_fma_f64 v[2:3], v[19:20], v[2:3], -v[8:9]
	v_fma_f64 v[25:26], v[6:7], 0.5, v[15:16]
	v_fma_f64 v[15:16], v[6:7], 0.5, -v[15:16]
	v_add_co_u32_e32 v6, vcc, s4, v21
	v_addc_co_u32_e32 v7, vcc, v28, v22, vcc
	global_load_dwordx4 v[6:9], v[6:7], off
	v_fma_f64 v[21:22], -v[0:1], v[17:18], v[23:24]
	v_fma_f64 v[2:3], -v[0:1], v[17:18], v[2:3]
	v_fma_f64 v[17:18], v[19:20], v[0:1], v[25:26]
	v_fma_f64 v[0:1], -v[19:20], v[0:1], v[15:16]
	v_lshl_add_u32 v25, v58, 4, v61
	v_mov_b32_e32 v26, s5
	ds_write2_b64 v27, v[17:18], v[21:22] offset1:1
	ds_write_b128 v10, v[0:3] offset:7776
	ds_read_b128 v[0:3], v25
	ds_read_b128 v[15:18], v10 offset:6912
	s_waitcnt lgkmcnt(0)
	v_add_f64 v[19:20], v[0:1], -v[15:16]
	v_add_f64 v[21:22], v[2:3], v[17:18]
	v_add_f64 v[2:3], v[2:3], -v[17:18]
	v_add_f64 v[0:1], v[0:1], v[15:16]
	v_mul_f64 v[17:18], v[19:20], 0.5
	v_mul_f64 v[19:20], v[21:22], 0.5
	v_mul_f64 v[2:3], v[2:3], 0.5
	s_waitcnt vmcnt(1)
	v_mul_f64 v[15:16], v[17:18], v[13:14]
	v_fma_f64 v[21:22], v[19:20], v[13:14], v[2:3]
	v_fma_f64 v[13:14], v[19:20], v[13:14], -v[2:3]
	v_fma_f64 v[23:24], v[0:1], 0.5, v[15:16]
	v_fma_f64 v[15:16], v[0:1], 0.5, -v[15:16]
	v_add_co_u32_e32 v0, vcc, s4, v4
	v_addc_co_u32_e32 v1, vcc, v26, v5, vcc
	global_load_dwordx4 v[0:3], v[0:1], off offset:3456
	v_fma_f64 v[4:5], -v[11:12], v[17:18], v[21:22]
	v_fma_f64 v[13:14], -v[11:12], v[17:18], v[13:14]
	v_fma_f64 v[17:18], v[19:20], v[11:12], v[23:24]
	v_fma_f64 v[11:12], -v[19:20], v[11:12], v[15:16]
	v_lshl_add_u32 v21, v56, 4, v61
	ds_write2_b64 v25, v[17:18], v[4:5] offset1:1
	ds_write_b128 v10, v[11:14] offset:6912
	ds_read_b128 v[11:14], v21
	ds_read_b128 v[15:18], v10 offset:6048
	s_waitcnt lgkmcnt(0)
	v_add_f64 v[4:5], v[11:12], -v[15:16]
	v_add_f64 v[19:20], v[13:14], v[17:18]
	v_add_f64 v[13:14], v[13:14], -v[17:18]
	v_add_f64 v[11:12], v[11:12], v[15:16]
	v_mul_f64 v[4:5], v[4:5], 0.5
	v_mul_f64 v[17:18], v[19:20], 0.5
	v_mul_f64 v[13:14], v[13:14], 0.5
	s_waitcnt vmcnt(1)
	v_mul_f64 v[15:16], v[4:5], v[8:9]
	v_fma_f64 v[19:20], v[17:18], v[8:9], v[13:14]
	v_fma_f64 v[8:9], v[17:18], v[8:9], -v[13:14]
	v_fma_f64 v[13:14], v[11:12], 0.5, v[15:16]
	v_fma_f64 v[11:12], v[11:12], 0.5, -v[15:16]
	v_fma_f64 v[15:16], -v[6:7], v[4:5], v[19:20]
	v_fma_f64 v[8:9], -v[6:7], v[4:5], v[8:9]
	v_fma_f64 v[4:5], v[17:18], v[6:7], v[13:14]
	v_fma_f64 v[6:7], -v[17:18], v[6:7], v[11:12]
	ds_write2_b64 v21, v[4:5], v[15:16] offset1:1
	ds_write_b128 v10, v[6:9] offset:6048
	ds_read_b128 v[4:7], v62 offset:3456
	ds_read_b128 v[11:14], v10 offset:5184
	s_waitcnt lgkmcnt(0)
	v_add_f64 v[8:9], v[4:5], -v[11:12]
	v_add_f64 v[15:16], v[6:7], v[13:14]
	v_add_f64 v[6:7], v[6:7], -v[13:14]
	v_add_f64 v[4:5], v[4:5], v[11:12]
	v_mul_f64 v[8:9], v[8:9], 0.5
	v_mul_f64 v[13:14], v[15:16], 0.5
	;; [unrolled: 1-line block ×3, first 2 shown]
	s_waitcnt vmcnt(0)
	v_mul_f64 v[11:12], v[8:9], v[2:3]
	v_fma_f64 v[15:16], v[13:14], v[2:3], v[6:7]
	v_fma_f64 v[2:3], v[13:14], v[2:3], -v[6:7]
	v_fma_f64 v[6:7], v[4:5], 0.5, v[11:12]
	v_fma_f64 v[4:5], v[4:5], 0.5, -v[11:12]
	v_fma_f64 v[11:12], -v[0:1], v[8:9], v[15:16]
	v_fma_f64 v[2:3], -v[0:1], v[8:9], v[2:3]
	v_fma_f64 v[6:7], v[13:14], v[0:1], v[6:7]
	v_fma_f64 v[0:1], -v[13:14], v[0:1], v[4:5]
	v_add_u32_e32 v4, 0x800, v62
	ds_write2_b64 v4, v[6:7], v[11:12] offset0:176 offset1:177
	ds_write_b128 v10, v[0:3] offset:5184
	s_waitcnt lgkmcnt(0)
	s_barrier
	s_and_saveexec_b64 s[2:3], s[0:1]
	s_cbranch_execz .LBB0_30
; %bb.28:
	v_mul_lo_u32 v0, s7, v50
	v_mul_lo_u32 v3, s6, v51
	v_mad_u64_u32 v[1:2], s[0:1], s6, v50, 0
	v_mov_b32_e32 v7, s11
	v_mov_b32_e32 v53, v55
	v_add3_u32 v2, v2, v3, v0
	v_lshlrev_b64 v[1:2], 4, v[1:2]
	v_lshl_add_u32 v0, v52, 4, v61
	v_add_co_u32_e32 v1, vcc, s10, v1
	v_addc_co_u32_e32 v9, vcc, v7, v2, vcc
	v_lshlrev_b64 v[7:8], 4, v[48:49]
	ds_read_b128 v[3:6], v0
	v_add_co_u32_e32 v2, vcc, v1, v7
	v_addc_co_u32_e32 v1, vcc, v9, v8, vcc
	v_lshlrev_b64 v[7:8], 4, v[52:53]
	v_add_u32_e32 v54, 54, v52
	v_add_co_u32_e32 v11, vcc, v2, v7
	v_addc_co_u32_e32 v12, vcc, v1, v8, vcc
	ds_read_b128 v[7:10], v0 offset:864
	s_waitcnt lgkmcnt(1)
	global_store_dwordx4 v[11:12], v[3:6], off
	s_nop 0
	v_lshlrev_b64 v[3:4], 4, v[54:55]
	v_add_u32_e32 v54, 0x6c, v52
	v_add_co_u32_e32 v3, vcc, v2, v3
	v_addc_co_u32_e32 v4, vcc, v1, v4, vcc
	s_waitcnt lgkmcnt(0)
	global_store_dwordx4 v[3:4], v[7:10], off
	ds_read_b128 v[3:6], v0 offset:1728
	v_lshlrev_b64 v[7:8], 4, v[54:55]
	v_add_u32_e32 v54, 0xa2, v52
	v_add_co_u32_e32 v11, vcc, v2, v7
	v_addc_co_u32_e32 v12, vcc, v1, v8, vcc
	ds_read_b128 v[7:10], v0 offset:2592
	s_waitcnt lgkmcnt(1)
	global_store_dwordx4 v[11:12], v[3:6], off
	s_nop 0
	v_lshlrev_b64 v[3:4], 4, v[54:55]
	v_add_u32_e32 v54, 0xd8, v52
	v_add_co_u32_e32 v3, vcc, v2, v3
	v_addc_co_u32_e32 v4, vcc, v1, v4, vcc
	s_waitcnt lgkmcnt(0)
	global_store_dwordx4 v[3:4], v[7:10], off
	ds_read_b128 v[3:6], v0 offset:3456
	v_lshlrev_b64 v[7:8], 4, v[54:55]
	v_add_u32_e32 v54, 0x10e, v52
	v_add_co_u32_e32 v11, vcc, v2, v7
	v_addc_co_u32_e32 v12, vcc, v1, v8, vcc
	ds_read_b128 v[7:10], v0 offset:4320
	s_waitcnt lgkmcnt(1)
	global_store_dwordx4 v[11:12], v[3:6], off
	s_nop 0
	v_lshlrev_b64 v[3:4], 4, v[54:55]
	v_add_u32_e32 v54, 0x144, v52
	v_add_co_u32_e32 v3, vcc, v2, v3
	v_addc_co_u32_e32 v4, vcc, v1, v4, vcc
	s_waitcnt lgkmcnt(0)
	global_store_dwordx4 v[3:4], v[7:10], off
	ds_read_b128 v[3:6], v0 offset:5184
	v_lshlrev_b64 v[7:8], 4, v[54:55]
	v_add_u32_e32 v54, 0x17a, v52
	v_add_co_u32_e32 v11, vcc, v2, v7
	v_addc_co_u32_e32 v12, vcc, v1, v8, vcc
	ds_read_b128 v[7:10], v0 offset:6048
	s_waitcnt lgkmcnt(1)
	global_store_dwordx4 v[11:12], v[3:6], off
	s_nop 0
	v_lshlrev_b64 v[3:4], 4, v[54:55]
	v_add_u32_e32 v54, 0x1b0, v52
	v_add_co_u32_e32 v3, vcc, v2, v3
	v_addc_co_u32_e32 v4, vcc, v1, v4, vcc
	s_waitcnt lgkmcnt(0)
	global_store_dwordx4 v[3:4], v[7:10], off
	ds_read_b128 v[3:6], v0 offset:6912
	v_lshlrev_b64 v[7:8], 4, v[54:55]
	v_add_u32_e32 v54, 0x1e6, v52
	v_add_co_u32_e32 v11, vcc, v2, v7
	v_addc_co_u32_e32 v12, vcc, v1, v8, vcc
	ds_read_b128 v[7:10], v0 offset:7776
	s_waitcnt lgkmcnt(1)
	global_store_dwordx4 v[11:12], v[3:6], off
	s_nop 0
	v_lshlrev_b64 v[3:4], 4, v[54:55]
	v_add_co_u32_e32 v3, vcc, v2, v3
	v_addc_co_u32_e32 v4, vcc, v1, v4, vcc
	v_cmp_eq_u32_e32 vcc, 53, v52
	s_waitcnt lgkmcnt(0)
	global_store_dwordx4 v[3:4], v[7:10], off
	s_and_b64 exec, exec, vcc
	s_cbranch_execz .LBB0_30
; %bb.29:
	ds_read_b128 v[3:6], v0 offset:7792
	v_add_co_u32_e32 v0, vcc, 0x2000, v2
	v_addc_co_u32_e32 v1, vcc, 0, v1, vcc
	s_waitcnt lgkmcnt(0)
	global_store_dwordx4 v[0:1], v[3:6], off offset:448
.LBB0_30:
	s_endpgm
	.section	.rodata,"a",@progbits
	.p2align	6, 0x0
	.amdhsa_kernel fft_rtc_back_len540_factors_3_10_6_3_wgs_216_tpt_54_halfLds_dp_op_CI_CI_unitstride_sbrr_R2C_dirReg
		.amdhsa_group_segment_fixed_size 0
		.amdhsa_private_segment_fixed_size 0
		.amdhsa_kernarg_size 104
		.amdhsa_user_sgpr_count 6
		.amdhsa_user_sgpr_private_segment_buffer 1
		.amdhsa_user_sgpr_dispatch_ptr 0
		.amdhsa_user_sgpr_queue_ptr 0
		.amdhsa_user_sgpr_kernarg_segment_ptr 1
		.amdhsa_user_sgpr_dispatch_id 0
		.amdhsa_user_sgpr_flat_scratch_init 0
		.amdhsa_user_sgpr_private_segment_size 0
		.amdhsa_uses_dynamic_stack 0
		.amdhsa_system_sgpr_private_segment_wavefront_offset 0
		.amdhsa_system_sgpr_workgroup_id_x 1
		.amdhsa_system_sgpr_workgroup_id_y 0
		.amdhsa_system_sgpr_workgroup_id_z 0
		.amdhsa_system_sgpr_workgroup_info 0
		.amdhsa_system_vgpr_workitem_id 0
		.amdhsa_next_free_vgpr 121
		.amdhsa_next_free_sgpr 28
		.amdhsa_reserve_vcc 1
		.amdhsa_reserve_flat_scratch 0
		.amdhsa_float_round_mode_32 0
		.amdhsa_float_round_mode_16_64 0
		.amdhsa_float_denorm_mode_32 3
		.amdhsa_float_denorm_mode_16_64 3
		.amdhsa_dx10_clamp 1
		.amdhsa_ieee_mode 1
		.amdhsa_fp16_overflow 0
		.amdhsa_exception_fp_ieee_invalid_op 0
		.amdhsa_exception_fp_denorm_src 0
		.amdhsa_exception_fp_ieee_div_zero 0
		.amdhsa_exception_fp_ieee_overflow 0
		.amdhsa_exception_fp_ieee_underflow 0
		.amdhsa_exception_fp_ieee_inexact 0
		.amdhsa_exception_int_div_zero 0
	.end_amdhsa_kernel
	.text
.Lfunc_end0:
	.size	fft_rtc_back_len540_factors_3_10_6_3_wgs_216_tpt_54_halfLds_dp_op_CI_CI_unitstride_sbrr_R2C_dirReg, .Lfunc_end0-fft_rtc_back_len540_factors_3_10_6_3_wgs_216_tpt_54_halfLds_dp_op_CI_CI_unitstride_sbrr_R2C_dirReg
                                        ; -- End function
	.section	.AMDGPU.csdata,"",@progbits
; Kernel info:
; codeLenInByte = 8856
; NumSgprs: 32
; NumVgprs: 121
; ScratchSize: 0
; MemoryBound: 0
; FloatMode: 240
; IeeeMode: 1
; LDSByteSize: 0 bytes/workgroup (compile time only)
; SGPRBlocks: 3
; VGPRBlocks: 30
; NumSGPRsForWavesPerEU: 32
; NumVGPRsForWavesPerEU: 121
; Occupancy: 2
; WaveLimiterHint : 1
; COMPUTE_PGM_RSRC2:SCRATCH_EN: 0
; COMPUTE_PGM_RSRC2:USER_SGPR: 6
; COMPUTE_PGM_RSRC2:TRAP_HANDLER: 0
; COMPUTE_PGM_RSRC2:TGID_X_EN: 1
; COMPUTE_PGM_RSRC2:TGID_Y_EN: 0
; COMPUTE_PGM_RSRC2:TGID_Z_EN: 0
; COMPUTE_PGM_RSRC2:TIDIG_COMP_CNT: 0
	.type	__hip_cuid_3bc901459fc12f0f,@object ; @__hip_cuid_3bc901459fc12f0f
	.section	.bss,"aw",@nobits
	.globl	__hip_cuid_3bc901459fc12f0f
__hip_cuid_3bc901459fc12f0f:
	.byte	0                               ; 0x0
	.size	__hip_cuid_3bc901459fc12f0f, 1

	.ident	"AMD clang version 19.0.0git (https://github.com/RadeonOpenCompute/llvm-project roc-6.4.0 25133 c7fe45cf4b819c5991fe208aaa96edf142730f1d)"
	.section	".note.GNU-stack","",@progbits
	.addrsig
	.addrsig_sym __hip_cuid_3bc901459fc12f0f
	.amdgpu_metadata
---
amdhsa.kernels:
  - .args:
      - .actual_access:  read_only
        .address_space:  global
        .offset:         0
        .size:           8
        .value_kind:     global_buffer
      - .offset:         8
        .size:           8
        .value_kind:     by_value
      - .actual_access:  read_only
        .address_space:  global
        .offset:         16
        .size:           8
        .value_kind:     global_buffer
      - .actual_access:  read_only
        .address_space:  global
        .offset:         24
        .size:           8
        .value_kind:     global_buffer
      - .actual_access:  read_only
        .address_space:  global
        .offset:         32
        .size:           8
        .value_kind:     global_buffer
      - .offset:         40
        .size:           8
        .value_kind:     by_value
      - .actual_access:  read_only
        .address_space:  global
        .offset:         48
        .size:           8
        .value_kind:     global_buffer
      - .actual_access:  read_only
        .address_space:  global
        .offset:         56
        .size:           8
        .value_kind:     global_buffer
      - .offset:         64
        .size:           4
        .value_kind:     by_value
      - .actual_access:  read_only
        .address_space:  global
        .offset:         72
        .size:           8
        .value_kind:     global_buffer
      - .actual_access:  read_only
        .address_space:  global
        .offset:         80
        .size:           8
        .value_kind:     global_buffer
      - .actual_access:  read_only
        .address_space:  global
        .offset:         88
        .size:           8
        .value_kind:     global_buffer
      - .actual_access:  write_only
        .address_space:  global
        .offset:         96
        .size:           8
        .value_kind:     global_buffer
    .group_segment_fixed_size: 0
    .kernarg_segment_align: 8
    .kernarg_segment_size: 104
    .language:       OpenCL C
    .language_version:
      - 2
      - 0
    .max_flat_workgroup_size: 216
    .name:           fft_rtc_back_len540_factors_3_10_6_3_wgs_216_tpt_54_halfLds_dp_op_CI_CI_unitstride_sbrr_R2C_dirReg
    .private_segment_fixed_size: 0
    .sgpr_count:     32
    .sgpr_spill_count: 0
    .symbol:         fft_rtc_back_len540_factors_3_10_6_3_wgs_216_tpt_54_halfLds_dp_op_CI_CI_unitstride_sbrr_R2C_dirReg.kd
    .uniform_work_group_size: 1
    .uses_dynamic_stack: false
    .vgpr_count:     121
    .vgpr_spill_count: 0
    .wavefront_size: 64
amdhsa.target:   amdgcn-amd-amdhsa--gfx906
amdhsa.version:
  - 1
  - 2
...

	.end_amdgpu_metadata
